;; amdgpu-corpus repo=zjin-lcf/HeCBench kind=compiled arch=gfx1250 opt=O3
	.amdgcn_target "amdgcn-amd-amdhsa--gfx1250"
	.amdhsa_code_object_version 6
	.text
	.protected	_Z10init_spinsPaPKfxx   ; -- Begin function _Z10init_spinsPaPKfxx
	.globl	_Z10init_spinsPaPKfxx
	.p2align	8
	.type	_Z10init_spinsPaPKfxx,@function
_Z10init_spinsPaPKfxx:                  ; @_Z10init_spinsPaPKfxx
; %bb.0:
	s_clause 0x1
	s_load_b32 s2, s[0:1], 0x2c
	s_load_b128 s[4:7], s[0:1], 0x10
	s_bfe_u32 s3, ttmp6, 0x4000c
	s_and_b32 s8, ttmp6, 15
	s_add_co_i32 s3, s3, 1
	s_getreg_b32 s9, hwreg(HW_REG_IB_STS2, 6, 4)
	s_mul_i32 s3, ttmp9, s3
	v_mov_b32_e32 v1, 0
	s_add_co_i32 s8, s8, s3
	s_wait_kmcnt 0x0
	s_and_b32 s2, s2, 0xffff
	s_cmp_eq_u32 s9, 0
	s_cselect_b32 s3, ttmp9, s8
	s_delay_alu instid0(SALU_CYCLE_1)
	v_mad_nc_u64_u32 v[0:1], s2, s3, v[0:1]
	s_mul_u64 s[2:3], s[6:7], s[4:5]
	s_delay_alu instid0(VALU_DEP_1) | instid1(SALU_CYCLE_1)
	v_cmp_gt_i64_e32 vcc_lo, s[2:3], v[0:1]
	s_and_saveexec_b32 s2, vcc_lo
	s_cbranch_execz .LBB0_2
; %bb.1:
	s_load_b128 s[4:7], s[0:1], 0x0
	s_wait_kmcnt 0x0
	v_lshl_add_u64 v[2:3], v[0:1], 2, s[6:7]
	v_add_nc_u64_e32 v[0:1], s[4:5], v[0:1]
	global_load_b32 v2, v[2:3], off
	s_wait_loadcnt 0x0
	v_cmp_gt_f32_e32 vcc_lo, 0.5, v2
	v_cndmask_b32_e64 v2, 1, -1, vcc_lo
	global_store_b8 v[0:1], v2, off
.LBB0_2:
	s_endpgm
	.section	.rodata,"a",@progbits
	.p2align	6, 0x0
	.amdhsa_kernel _Z10init_spinsPaPKfxx
		.amdhsa_group_segment_fixed_size 0
		.amdhsa_private_segment_fixed_size 0
		.amdhsa_kernarg_size 288
		.amdhsa_user_sgpr_count 2
		.amdhsa_user_sgpr_dispatch_ptr 0
		.amdhsa_user_sgpr_queue_ptr 0
		.amdhsa_user_sgpr_kernarg_segment_ptr 1
		.amdhsa_user_sgpr_dispatch_id 0
		.amdhsa_user_sgpr_kernarg_preload_length 0
		.amdhsa_user_sgpr_kernarg_preload_offset 0
		.amdhsa_user_sgpr_private_segment_size 0
		.amdhsa_wavefront_size32 1
		.amdhsa_uses_dynamic_stack 0
		.amdhsa_enable_private_segment 0
		.amdhsa_system_sgpr_workgroup_id_x 1
		.amdhsa_system_sgpr_workgroup_id_y 0
		.amdhsa_system_sgpr_workgroup_id_z 0
		.amdhsa_system_sgpr_workgroup_info 0
		.amdhsa_system_vgpr_workitem_id 0
		.amdhsa_next_free_vgpr 4
		.amdhsa_next_free_sgpr 10
		.amdhsa_named_barrier_count 0
		.amdhsa_reserve_vcc 1
		.amdhsa_float_round_mode_32 0
		.amdhsa_float_round_mode_16_64 0
		.amdhsa_float_denorm_mode_32 3
		.amdhsa_float_denorm_mode_16_64 3
		.amdhsa_fp16_overflow 0
		.amdhsa_memory_ordered 1
		.amdhsa_forward_progress 1
		.amdhsa_inst_pref_size 2
		.amdhsa_round_robin_scheduling 0
		.amdhsa_exception_fp_ieee_invalid_op 0
		.amdhsa_exception_fp_denorm_src 0
		.amdhsa_exception_fp_ieee_div_zero 0
		.amdhsa_exception_fp_ieee_overflow 0
		.amdhsa_exception_fp_ieee_underflow 0
		.amdhsa_exception_fp_ieee_inexact 0
		.amdhsa_exception_int_div_zero 0
	.end_amdhsa_kernel
	.text
.Lfunc_end0:
	.size	_Z10init_spinsPaPKfxx, .Lfunc_end0-_Z10init_spinsPaPKfxx
                                        ; -- End function
	.set _Z10init_spinsPaPKfxx.num_vgpr, 4
	.set _Z10init_spinsPaPKfxx.num_agpr, 0
	.set _Z10init_spinsPaPKfxx.numbered_sgpr, 10
	.set _Z10init_spinsPaPKfxx.num_named_barrier, 0
	.set _Z10init_spinsPaPKfxx.private_seg_size, 0
	.set _Z10init_spinsPaPKfxx.uses_vcc, 1
	.set _Z10init_spinsPaPKfxx.uses_flat_scratch, 0
	.set _Z10init_spinsPaPKfxx.has_dyn_sized_stack, 0
	.set _Z10init_spinsPaPKfxx.has_recursion, 0
	.set _Z10init_spinsPaPKfxx.has_indirect_call, 0
	.section	.AMDGPU.csdata,"",@progbits
; Kernel info:
; codeLenInByte = 172
; TotalNumSgprs: 12
; NumVgprs: 4
; ScratchSize: 0
; MemoryBound: 0
; FloatMode: 240
; IeeeMode: 1
; LDSByteSize: 0 bytes/workgroup (compile time only)
; SGPRBlocks: 0
; VGPRBlocks: 0
; NumSGPRsForWavesPerEU: 12
; NumVGPRsForWavesPerEU: 4
; NamedBarCnt: 0
; Occupancy: 16
; WaveLimiterHint : 0
; COMPUTE_PGM_RSRC2:SCRATCH_EN: 0
; COMPUTE_PGM_RSRC2:USER_SGPR: 2
; COMPUTE_PGM_RSRC2:TRAP_HANDLER: 0
; COMPUTE_PGM_RSRC2:TGID_X_EN: 1
; COMPUTE_PGM_RSRC2:TGID_Y_EN: 0
; COMPUTE_PGM_RSRC2:TGID_Z_EN: 0
; COMPUTE_PGM_RSRC2:TIDIG_COMP_CNT: 0
	.section	.text._Z14update_latticeILb1EEvPaPKaPKffxx,"axG",@progbits,_Z14update_latticeILb1EEvPaPKaPKffxx,comdat
	.protected	_Z14update_latticeILb1EEvPaPKaPKffxx ; -- Begin function _Z14update_latticeILb1EEvPaPKaPKffxx
	.globl	_Z14update_latticeILb1EEvPaPKaPKffxx
	.p2align	8
	.type	_Z14update_latticeILb1EEvPaPKaPKffxx,@function
_Z14update_latticeILb1EEvPaPKaPKffxx:   ; @_Z14update_latticeILb1EEvPaPKaPKffxx
; %bb.0:
	s_clause 0x1
	s_load_b32 s2, s[0:1], 0x3c
	s_load_b128 s[4:7], s[0:1], 0x20
	s_bfe_u32 s3, ttmp6, 0x4000c
	s_and_b32 s8, ttmp6, 15
	s_add_co_i32 s3, s3, 1
	s_getreg_b32 s9, hwreg(HW_REG_IB_STS2, 6, 4)
	s_mul_i32 s3, ttmp9, s3
	v_mov_b32_e32 v1, 0
	s_add_co_i32 s8, s8, s3
	s_wait_kmcnt 0x0
	s_and_b32 s2, s2, 0xffff
	s_cmp_eq_u32 s9, 0
	s_cselect_b32 s3, ttmp9, s8
	s_delay_alu instid0(SALU_CYCLE_1) | instskip(SKIP_1) | instid1(VALU_DEP_1)
	v_mad_nc_u64_u32 v[2:3], s2, s3, v[0:1]
	s_mov_b32 s3, 0
	v_dual_mov_b32 v4, v1 :: v_dual_bitop2_b32 v5, s7, v3 bitop3:0x54
	s_delay_alu instid0(VALU_DEP_1) | instskip(SKIP_1) | instid1(SALU_CYCLE_1)
	v_cmp_ne_u64_e32 vcc_lo, 0, v[4:5]
                                        ; implicit-def: $vgpr4_vgpr5
	s_and_saveexec_b32 s2, vcc_lo
	s_xor_b32 s12, exec_lo, s2
	s_cbranch_execz .LBB1_2
; %bb.1:
	s_ashr_i32 s8, s7, 31
	v_dual_mov_b32 v9, v1 :: v_dual_ashrrev_i32 v4, 31, v3
	s_mov_b32 s9, s8
	v_mov_b32_e32 v15, v1
	s_add_nc_u64 s[10:11], s[6:7], s[8:9]
	s_delay_alu instid0(VALU_DEP_2) | instskip(SKIP_1) | instid1(SALU_CYCLE_1)
	v_mov_b32_e32 v5, v4
	s_xor_b64 s[10:11], s[10:11], s[8:9]
	s_cvt_f32_u32 s2, s10
	s_cvt_f32_u32 s9, s11
	s_sub_nc_u64 s[16:17], 0, s[10:11]
	v_add_nc_u64_e32 v[6:7], v[2:3], v[4:5]
	s_delay_alu instid0(SALU_CYCLE_1) | instskip(NEXT) | instid1(SALU_CYCLE_3)
	s_fmamk_f32 s2, s9, 0x4f800000, s2
	v_s_rcp_f32 s2, s2
	s_delay_alu instid0(VALU_DEP_1) | instskip(NEXT) | instid1(VALU_DEP_2)
	v_xor_b32_e32 v0, v6, v4
	v_xor_b32_e32 v8, v7, v4
	s_delay_alu instid0(TRANS32_DEP_1) | instskip(NEXT) | instid1(SALU_CYCLE_3)
	s_mul_f32 s2, s2, 0x5f7ffffc
	s_mul_f32 s9, s2, 0x2f800000
	s_delay_alu instid0(SALU_CYCLE_3) | instskip(NEXT) | instid1(SALU_CYCLE_3)
	s_trunc_f32 s9, s9
	s_fmamk_f32 s2, s9, 0xcf800000, s2
	s_cvt_u32_f32 s15, s9
	s_delay_alu instid0(SALU_CYCLE_2) | instskip(NEXT) | instid1(SALU_CYCLE_3)
	s_cvt_u32_f32 s14, s2
	s_mul_u64 s[18:19], s[16:17], s[14:15]
	s_delay_alu instid0(SALU_CYCLE_1)
	s_mul_hi_u32 s21, s14, s19
	s_mul_i32 s20, s14, s19
	s_mul_hi_u32 s2, s14, s18
	s_mul_i32 s13, s15, s18
	s_add_nc_u64 s[20:21], s[2:3], s[20:21]
	s_mul_hi_u32 s9, s15, s18
	s_mul_hi_u32 s22, s15, s19
	s_add_co_u32 s2, s20, s13
	s_add_co_ci_u32 s2, s21, s9
	s_mul_i32 s18, s15, s19
	s_add_co_ci_u32 s19, s22, 0
	s_delay_alu instid0(SALU_CYCLE_1) | instskip(NEXT) | instid1(SALU_CYCLE_1)
	s_add_nc_u64 s[18:19], s[2:3], s[18:19]
	s_add_co_u32 s14, s14, s18
	s_cselect_b32 s2, -1, 0
	s_delay_alu instid0(SALU_CYCLE_1) | instskip(SKIP_1) | instid1(SALU_CYCLE_1)
	s_cmp_lg_u32 s2, 0
	s_add_co_ci_u32 s15, s15, s19
	s_mul_u64 s[16:17], s[16:17], s[14:15]
	s_delay_alu instid0(SALU_CYCLE_1)
	s_mul_hi_u32 s19, s14, s17
	s_mul_i32 s18, s14, s17
	s_mul_hi_u32 s2, s14, s16
	s_mul_i32 s13, s15, s16
	s_add_nc_u64 s[18:19], s[2:3], s[18:19]
	s_mul_hi_u32 s9, s15, s16
	s_mul_hi_u32 s20, s15, s17
	s_add_co_u32 s2, s18, s13
	s_add_co_ci_u32 s2, s19, s9
	s_mul_i32 s16, s15, s17
	s_add_co_ci_u32 s17, s20, 0
	s_delay_alu instid0(SALU_CYCLE_1) | instskip(NEXT) | instid1(SALU_CYCLE_1)
	s_add_nc_u64 s[16:17], s[2:3], s[16:17]
	s_add_co_u32 s14, s14, s16
	s_cselect_b32 s2, -1, 0
	v_mul_hi_u32 v14, v0, s14
	s_cmp_lg_u32 s2, 0
	s_add_co_ci_u32 s2, s15, s17
	s_mov_b64 s[16:17], 0xffffffff
	v_mul_u64_e32 v[10:11], s[2:3], v[0:1]
	s_and_b64 s[16:17], s[14:15], s[16:17]
	v_mul_u64_e32 v[12:13], s[2:3], v[8:9]
	v_mul_u64_e32 v[6:7], s[16:17], v[8:9]
	s_delay_alu instid0(VALU_DEP_3) | instskip(NEXT) | instid1(VALU_DEP_1)
	v_add_nc_u64_e32 v[10:11], v[14:15], v[10:11]
	v_add_co_u32 v1, vcc_lo, v10, v6
	s_delay_alu instid0(VALU_DEP_2) | instskip(SKIP_1) | instid1(VALU_DEP_1)
	v_add_co_ci_u32_e32 v14, vcc_lo, v11, v7, vcc_lo
	v_add_co_ci_u32_e32 v13, vcc_lo, 0, v13, vcc_lo
	v_add_nc_u64_e32 v[6:7], v[14:15], v[12:13]
	s_delay_alu instid0(VALU_DEP_1) | instskip(NEXT) | instid1(VALU_DEP_1)
	v_mul_u64_e32 v[10:11], s[10:11], v[6:7]
	v_sub_nc_u32_e32 v1, v8, v11
	s_delay_alu instid0(VALU_DEP_2) | instskip(NEXT) | instid1(VALU_DEP_1)
	v_sub_co_u32 v0, vcc_lo, v0, v10
	v_sub_co_ci_u32_e64 v10, null, v8, v11, vcc_lo
	s_delay_alu instid0(VALU_DEP_3) | instskip(NEXT) | instid1(VALU_DEP_3)
	v_subrev_co_ci_u32_e64 v1, null, s11, v1, vcc_lo
	v_sub_co_u32 v5, s2, v0, s10
	s_delay_alu instid0(VALU_DEP_1) | instskip(NEXT) | instid1(VALU_DEP_2)
	v_subrev_co_ci_u32_e64 v1, null, 0, v1, s2
	v_cmp_le_u32_e32 vcc_lo, s10, v5
	v_cndmask_b32_e64 v5, 0, -1, vcc_lo
	s_delay_alu instid0(VALU_DEP_3)
	v_cmp_le_u32_e32 vcc_lo, s11, v1
	v_cndmask_b32_e64 v8, 0, -1, vcc_lo
	v_cmp_le_u32_e32 vcc_lo, s10, v0
	v_cndmask_b32_e64 v11, 0, -1, vcc_lo
	;; [unrolled: 2-line block ×3, first 2 shown]
	v_cmp_eq_u32_e32 vcc_lo, s11, v1
	v_add_nc_u64_e32 v[0:1], 2, v[6:7]
	v_cndmask_b32_e32 v5, v8, v5, vcc_lo
	v_cmp_eq_u32_e32 vcc_lo, s11, v10
	v_add_nc_u64_e32 v[8:9], 1, v[6:7]
	v_cndmask_b32_e32 v10, v12, v11, vcc_lo
	s_delay_alu instid0(VALU_DEP_4) | instskip(NEXT) | instid1(VALU_DEP_3)
	v_cmp_ne_u32_e32 vcc_lo, 0, v5
	v_cndmask_b32_e32 v1, v9, v1, vcc_lo
	s_delay_alu instid0(VALU_DEP_3) | instskip(SKIP_1) | instid1(VALU_DEP_2)
	v_cmp_ne_u32_e64 s2, 0, v10
	v_cndmask_b32_e32 v5, v8, v0, vcc_lo
	v_dual_cndmask_b32 v4, v7, v1, s2 :: v_dual_bitop2_b32 v0, s8, v4 bitop3:0x14
	s_delay_alu instid0(VALU_DEP_1) | instskip(NEXT) | instid1(VALU_DEP_2)
	v_dual_cndmask_b32 v6, v6, v5, s2 :: v_dual_mov_b32 v1, v0
	v_xor_b32_e32 v5, v4, v0
	s_delay_alu instid0(VALU_DEP_2) | instskip(NEXT) | instid1(VALU_DEP_1)
	v_xor_b32_e32 v4, v6, v0
	v_sub_nc_u64_e32 v[4:5], v[4:5], v[0:1]
.LBB1_2:
	s_and_not1_saveexec_b32 s2, s12
	s_cbranch_execz .LBB1_4
; %bb.3:
	v_cvt_f32_u32_e32 v0, s6
	s_sub_co_i32 s3, 0, s6
	s_delay_alu instid0(VALU_DEP_1) | instskip(SKIP_1) | instid1(TRANS32_DEP_1)
	v_rcp_iflag_f32_e32 v0, v0
	v_nop
	v_mul_f32_e32 v0, 0x4f7ffffe, v0
	s_delay_alu instid0(VALU_DEP_1) | instskip(NEXT) | instid1(VALU_DEP_1)
	v_cvt_u32_f32_e32 v0, v0
	v_mul_lo_u32 v1, s3, v0
	s_delay_alu instid0(VALU_DEP_1) | instskip(NEXT) | instid1(VALU_DEP_1)
	v_mul_hi_u32 v1, v0, v1
	v_add_nc_u32_e32 v0, v0, v1
	s_delay_alu instid0(VALU_DEP_1) | instskip(NEXT) | instid1(VALU_DEP_1)
	v_mul_hi_u32 v0, v2, v0
	v_mul_lo_u32 v1, v0, s6
	s_delay_alu instid0(VALU_DEP_1) | instskip(NEXT) | instid1(VALU_DEP_1)
	v_sub_nc_u32_e32 v1, v2, v1
	v_subrev_nc_u32_e32 v5, s6, v1
	v_cmp_le_u32_e32 vcc_lo, s6, v1
	s_delay_alu instid0(VALU_DEP_2) | instskip(NEXT) | instid1(VALU_DEP_1)
	v_dual_cndmask_b32 v1, v1, v5 :: v_dual_add_nc_u32 v4, 1, v0
	v_dual_cndmask_b32 v0, v0, v4 :: v_dual_mov_b32 v5, 0
	s_delay_alu instid0(VALU_DEP_2) | instskip(NEXT) | instid1(VALU_DEP_2)
	v_cmp_le_u32_e32 vcc_lo, s6, v1
	v_add_nc_u32_e32 v4, 1, v0
	s_delay_alu instid0(VALU_DEP_1)
	v_cndmask_b32_e32 v4, v0, v4, vcc_lo
.LBB1_4:
	s_or_b32 exec_lo, exec_lo, s2
	s_delay_alu instid0(VALU_DEP_1) | instskip(SKIP_1) | instid1(VALU_DEP_1)
	v_dual_mov_b32 v0, v4 :: v_dual_ashrrev_i32 v1, 31, v4
	s_mov_b32 s2, exec_lo
	v_cmpx_gt_i64_e64 s[4:5], v[0:1]
	s_cbranch_execz .LBB1_8
; %bb.5:
	v_mul_u64_e32 v[6:7], s[6:7], v[4:5]
	s_delay_alu instid0(VALU_DEP_1) | instskip(NEXT) | instid1(VALU_DEP_1)
	v_sub_nc_u64_e32 v[2:3], v[2:3], v[6:7]
	v_ashrrev_i32_e32 v3, 31, v2
	s_delay_alu instid0(VALU_DEP_1)
	v_cmp_gt_i64_e32 vcc_lo, s[6:7], v[2:3]
	s_and_b32 exec_lo, exec_lo, vcc_lo
	s_cbranch_execz .LBB1_8
; %bb.6:
	s_load_b128 s[8:11], s[0:1], 0x0
	v_cmp_lt_i32_e32 vcc_lo, 0, v4
	v_add_nc_u32_e32 v6, 1, v4
	v_mul_lo_u32 v16, v1, s6
	v_mad_nc_u64_u32 v[12:13], v0, s6, v[2:3]
	v_mul_lo_u32 v15, v0, s7
	s_delay_alu instid0(VALU_DEP_4) | instskip(SKIP_2) | instid1(VALU_DEP_1)
	v_dual_cndmask_b32 v5, s4, v4, vcc_lo :: v_dual_ashrrev_i32 v7, 31, v6
	s_wait_xcnt 0x0
	s_load_b96 s[0:2], s[0:1], 0x10
	v_dual_add_nc_u32 v5, -1, v5 :: v_dual_bitop2_b32 v4, 1, v4 bitop3:0x40
	s_delay_alu instid0(VALU_DEP_2) | instskip(NEXT) | instid1(VALU_DEP_4)
	v_cmp_gt_i64_e32 vcc_lo, s[4:5], v[6:7]
	v_add3_u32 v13, v16, v13, v15
	v_dual_cndmask_b32 v11, 0, v7 :: v_dual_cndmask_b32 v14, 0, v6
	s_wait_kmcnt 0x0
	v_mad_nc_u64_u32 v[8:9], v5, s6, s[10:11]
	v_cmp_lt_i32_e32 vcc_lo, 0, v2
	v_ashrrev_i32_e32 v10, 31, v5
	v_mad_nc_u64_u32 v[6:7], v14, s6, s[10:11]
	v_cndmask_b32_e32 v1, s6, v2, vcc_lo
	s_delay_alu instid0(VALU_DEP_3) | instskip(SKIP_1) | instid1(VALU_DEP_4)
	v_mad_u32 v9, v10, s6, v9
	v_add_nc_u32_e32 v10, 1, v2
	v_mad_u32 v7, v11, s6, v7
	s_delay_alu instid0(VALU_DEP_2) | instskip(NEXT) | instid1(VALU_DEP_4)
	v_ashrrev_i32_e32 v11, 31, v10
	v_mad_u32 v9, v5, s7, v9
	v_add_nc_u32_e32 v5, -1, v1
	s_delay_alu instid0(VALU_DEP_3)
	v_cmp_gt_i64_e32 vcc_lo, s[6:7], v[10:11]
	v_mad_nc_u64_u32 v[0:1], v0, s6, s[10:11]
	v_mad_u32 v7, v14, s7, v7
	v_cndmask_b32_e32 v10, 0, v10, vcc_lo
	v_cmp_eq_u32_e32 vcc_lo, 0, v4
	v_add_nc_u64_e32 v[8:9], v[8:9], v[2:3]
	v_add3_u32 v1, v16, v1, v15
	s_delay_alu instid0(VALU_DEP_4)
	v_cndmask_b32_e32 v4, v10, v5, vcc_lo
	v_add_nc_u64_e32 v[10:11], s[10:11], v[12:13]
	v_add_nc_u64_e32 v[2:3], v[6:7], v[2:3]
	s_clause 0x1
	global_load_u8 v6, v[8:9], off
	global_load_u8 v7, v[10:11], off
	v_ashrrev_i32_e32 v5, 31, v4
	s_delay_alu instid0(VALU_DEP_1)
	v_add_nc_u64_e32 v[0:1], v[0:1], v[4:5]
	s_clause 0x1
	global_load_u8 v8, v[2:3], off
	global_load_u8 v9, v[0:1], off
	s_wait_xcnt 0x0
	v_add_nc_u64_e32 v[0:1], s[8:9], v[12:13]
	v_lshl_add_u64 v[4:5], v[12:13], 2, s[0:1]
	s_mul_f32 s0, s2, -2.0
	global_load_b32 v3, v[4:5], off
	global_load_i8 v2, v[0:1], off
	s_wait_loadcnt 0x4
	s_wait_xcnt 0x1
	v_add_nc_u16 v4, v7, v6
	s_wait_loadcnt 0x3
	s_delay_alu instid0(VALU_DEP_1) | instskip(SKIP_1) | instid1(VALU_DEP_1)
	v_add_nc_u16 v4, v4, v8
	s_wait_loadcnt 0x2
	v_add_nc_u16 v4, v4, v9
	s_wait_loadcnt 0x0
	v_bfe_i32 v5, v2, 0, 16
	s_delay_alu instid0(VALU_DEP_2) | instskip(NEXT) | instid1(VALU_DEP_2)
	v_bfe_i32 v4, v4, 0, 8
	v_cvt_f32_i32_e32 v5, v5
	s_delay_alu instid0(VALU_DEP_2) | instskip(NEXT) | instid1(VALU_DEP_1)
	v_bfe_i32 v4, v4, 0, 16
	v_cvt_f32_i32_e32 v4, v4
	s_delay_alu instid0(VALU_DEP_1) | instskip(NEXT) | instid1(VALU_DEP_1)
	v_mul_f32_e32 v4, s0, v4
	v_mul_f32_e32 v4, v4, v5
	s_delay_alu instid0(VALU_DEP_1) | instskip(SKIP_1) | instid1(VALU_DEP_2)
	v_mul_f32_e32 v5, 0x3fb8aa3b, v4
	v_cmp_ngt_f32_e32 vcc_lo, 0xc2ce8ed0, v4
	v_fma_f32 v6, 0x3fb8aa3b, v4, -v5
	v_rndne_f32_e32 v7, v5
	s_delay_alu instid0(VALU_DEP_1) | instskip(NEXT) | instid1(VALU_DEP_1)
	v_dual_fmamk_f32 v6, v4, 0x32a5705f, v6 :: v_dual_sub_f32 v5, v5, v7
	v_add_f32_e32 v5, v5, v6
	v_cvt_i32_f32_e32 v6, v7
	s_delay_alu instid0(VALU_DEP_2) | instskip(SKIP_1) | instid1(TRANS32_DEP_1)
	v_exp_f32_e32 v5, v5
	v_nop
	v_ldexp_f32 v5, v5, v6
	s_delay_alu instid0(VALU_DEP_1) | instskip(SKIP_1) | instid1(VALU_DEP_2)
	v_cndmask_b32_e32 v5, 0, v5, vcc_lo
	v_cmp_nlt_f32_e32 vcc_lo, 0x42b17218, v4
	v_cndmask_b32_e32 v4, 0x7f800000, v5, vcc_lo
	s_delay_alu instid0(VALU_DEP_1)
	v_cmp_lt_f32_e32 vcc_lo, v3, v4
	s_and_b32 exec_lo, exec_lo, vcc_lo
	s_cbranch_execz .LBB1_8
; %bb.7:
	v_sub_nc_u16 v2, 0, v2
	global_store_b8 v[0:1], v2, off
.LBB1_8:
	s_endpgm
	.section	.rodata,"a",@progbits
	.p2align	6, 0x0
	.amdhsa_kernel _Z14update_latticeILb1EEvPaPKaPKffxx
		.amdhsa_group_segment_fixed_size 0
		.amdhsa_private_segment_fixed_size 0
		.amdhsa_kernarg_size 304
		.amdhsa_user_sgpr_count 2
		.amdhsa_user_sgpr_dispatch_ptr 0
		.amdhsa_user_sgpr_queue_ptr 0
		.amdhsa_user_sgpr_kernarg_segment_ptr 1
		.amdhsa_user_sgpr_dispatch_id 0
		.amdhsa_user_sgpr_kernarg_preload_length 0
		.amdhsa_user_sgpr_kernarg_preload_offset 0
		.amdhsa_user_sgpr_private_segment_size 0
		.amdhsa_wavefront_size32 1
		.amdhsa_uses_dynamic_stack 0
		.amdhsa_enable_private_segment 0
		.amdhsa_system_sgpr_workgroup_id_x 1
		.amdhsa_system_sgpr_workgroup_id_y 0
		.amdhsa_system_sgpr_workgroup_id_z 0
		.amdhsa_system_sgpr_workgroup_info 0
		.amdhsa_system_vgpr_workitem_id 0
		.amdhsa_next_free_vgpr 17
		.amdhsa_next_free_sgpr 23
		.amdhsa_named_barrier_count 0
		.amdhsa_reserve_vcc 1
		.amdhsa_float_round_mode_32 0
		.amdhsa_float_round_mode_16_64 0
		.amdhsa_float_denorm_mode_32 3
		.amdhsa_float_denorm_mode_16_64 3
		.amdhsa_fp16_overflow 0
		.amdhsa_memory_ordered 1
		.amdhsa_forward_progress 1
		.amdhsa_inst_pref_size 12
		.amdhsa_round_robin_scheduling 0
		.amdhsa_exception_fp_ieee_invalid_op 0
		.amdhsa_exception_fp_denorm_src 0
		.amdhsa_exception_fp_ieee_div_zero 0
		.amdhsa_exception_fp_ieee_overflow 0
		.amdhsa_exception_fp_ieee_underflow 0
		.amdhsa_exception_fp_ieee_inexact 0
		.amdhsa_exception_int_div_zero 0
	.end_amdhsa_kernel
	.section	.text._Z14update_latticeILb1EEvPaPKaPKffxx,"axG",@progbits,_Z14update_latticeILb1EEvPaPKaPKffxx,comdat
.Lfunc_end1:
	.size	_Z14update_latticeILb1EEvPaPKaPKffxx, .Lfunc_end1-_Z14update_latticeILb1EEvPaPKaPKffxx
                                        ; -- End function
	.set _Z14update_latticeILb1EEvPaPKaPKffxx.num_vgpr, 17
	.set _Z14update_latticeILb1EEvPaPKaPKffxx.num_agpr, 0
	.set _Z14update_latticeILb1EEvPaPKaPKffxx.numbered_sgpr, 23
	.set _Z14update_latticeILb1EEvPaPKaPKffxx.num_named_barrier, 0
	.set _Z14update_latticeILb1EEvPaPKaPKffxx.private_seg_size, 0
	.set _Z14update_latticeILb1EEvPaPKaPKffxx.uses_vcc, 1
	.set _Z14update_latticeILb1EEvPaPKaPKffxx.uses_flat_scratch, 0
	.set _Z14update_latticeILb1EEvPaPKaPKffxx.has_dyn_sized_stack, 0
	.set _Z14update_latticeILb1EEvPaPKaPKffxx.has_recursion, 0
	.set _Z14update_latticeILb1EEvPaPKaPKffxx.has_indirect_call, 0
	.section	.AMDGPU.csdata,"",@progbits
; Kernel info:
; codeLenInByte = 1488
; TotalNumSgprs: 25
; NumVgprs: 17
; ScratchSize: 0
; MemoryBound: 0
; FloatMode: 240
; IeeeMode: 1
; LDSByteSize: 0 bytes/workgroup (compile time only)
; SGPRBlocks: 0
; VGPRBlocks: 1
; NumSGPRsForWavesPerEU: 25
; NumVGPRsForWavesPerEU: 17
; NamedBarCnt: 0
; Occupancy: 16
; WaveLimiterHint : 0
; COMPUTE_PGM_RSRC2:SCRATCH_EN: 0
; COMPUTE_PGM_RSRC2:USER_SGPR: 2
; COMPUTE_PGM_RSRC2:TRAP_HANDLER: 0
; COMPUTE_PGM_RSRC2:TGID_X_EN: 1
; COMPUTE_PGM_RSRC2:TGID_Y_EN: 0
; COMPUTE_PGM_RSRC2:TGID_Z_EN: 0
; COMPUTE_PGM_RSRC2:TIDIG_COMP_CNT: 0
	.section	.text._Z14update_latticeILb0EEvPaPKaPKffxx,"axG",@progbits,_Z14update_latticeILb0EEvPaPKaPKffxx,comdat
	.protected	_Z14update_latticeILb0EEvPaPKaPKffxx ; -- Begin function _Z14update_latticeILb0EEvPaPKaPKffxx
	.globl	_Z14update_latticeILb0EEvPaPKaPKffxx
	.p2align	8
	.type	_Z14update_latticeILb0EEvPaPKaPKffxx,@function
_Z14update_latticeILb0EEvPaPKaPKffxx:   ; @_Z14update_latticeILb0EEvPaPKaPKffxx
; %bb.0:
	s_clause 0x1
	s_load_b32 s2, s[0:1], 0x3c
	s_load_b128 s[4:7], s[0:1], 0x20
	s_bfe_u32 s3, ttmp6, 0x4000c
	s_and_b32 s8, ttmp6, 15
	s_add_co_i32 s3, s3, 1
	s_getreg_b32 s9, hwreg(HW_REG_IB_STS2, 6, 4)
	s_mul_i32 s3, ttmp9, s3
	v_mov_b32_e32 v1, 0
	s_add_co_i32 s8, s8, s3
	s_wait_kmcnt 0x0
	s_and_b32 s2, s2, 0xffff
	s_cmp_eq_u32 s9, 0
	s_cselect_b32 s3, ttmp9, s8
	s_delay_alu instid0(SALU_CYCLE_1) | instskip(SKIP_1) | instid1(VALU_DEP_1)
	v_mad_nc_u64_u32 v[2:3], s2, s3, v[0:1]
	s_mov_b32 s3, 0
	v_dual_mov_b32 v4, v1 :: v_dual_bitop2_b32 v5, s7, v3 bitop3:0x54
	s_delay_alu instid0(VALU_DEP_1) | instskip(SKIP_1) | instid1(SALU_CYCLE_1)
	v_cmp_ne_u64_e32 vcc_lo, 0, v[4:5]
                                        ; implicit-def: $vgpr4_vgpr5
	s_and_saveexec_b32 s2, vcc_lo
	s_xor_b32 s12, exec_lo, s2
	s_cbranch_execz .LBB2_2
; %bb.1:
	s_ashr_i32 s8, s7, 31
	v_dual_mov_b32 v9, v1 :: v_dual_ashrrev_i32 v4, 31, v3
	s_mov_b32 s9, s8
	v_mov_b32_e32 v15, v1
	s_add_nc_u64 s[10:11], s[6:7], s[8:9]
	s_delay_alu instid0(VALU_DEP_2) | instskip(SKIP_1) | instid1(SALU_CYCLE_1)
	v_mov_b32_e32 v5, v4
	s_xor_b64 s[10:11], s[10:11], s[8:9]
	s_cvt_f32_u32 s2, s10
	s_cvt_f32_u32 s9, s11
	s_sub_nc_u64 s[16:17], 0, s[10:11]
	v_add_nc_u64_e32 v[6:7], v[2:3], v[4:5]
	s_delay_alu instid0(SALU_CYCLE_1) | instskip(NEXT) | instid1(SALU_CYCLE_3)
	s_fmamk_f32 s2, s9, 0x4f800000, s2
	v_s_rcp_f32 s2, s2
	s_delay_alu instid0(VALU_DEP_1) | instskip(NEXT) | instid1(VALU_DEP_2)
	v_xor_b32_e32 v0, v6, v4
	v_xor_b32_e32 v8, v7, v4
	s_delay_alu instid0(TRANS32_DEP_1) | instskip(NEXT) | instid1(SALU_CYCLE_3)
	s_mul_f32 s2, s2, 0x5f7ffffc
	s_mul_f32 s9, s2, 0x2f800000
	s_delay_alu instid0(SALU_CYCLE_3) | instskip(NEXT) | instid1(SALU_CYCLE_3)
	s_trunc_f32 s9, s9
	s_fmamk_f32 s2, s9, 0xcf800000, s2
	s_cvt_u32_f32 s15, s9
	s_delay_alu instid0(SALU_CYCLE_2) | instskip(NEXT) | instid1(SALU_CYCLE_3)
	s_cvt_u32_f32 s14, s2
	s_mul_u64 s[18:19], s[16:17], s[14:15]
	s_delay_alu instid0(SALU_CYCLE_1)
	s_mul_hi_u32 s21, s14, s19
	s_mul_i32 s20, s14, s19
	s_mul_hi_u32 s2, s14, s18
	s_mul_i32 s13, s15, s18
	s_add_nc_u64 s[20:21], s[2:3], s[20:21]
	s_mul_hi_u32 s9, s15, s18
	s_mul_hi_u32 s22, s15, s19
	s_add_co_u32 s2, s20, s13
	s_add_co_ci_u32 s2, s21, s9
	s_mul_i32 s18, s15, s19
	s_add_co_ci_u32 s19, s22, 0
	s_delay_alu instid0(SALU_CYCLE_1) | instskip(NEXT) | instid1(SALU_CYCLE_1)
	s_add_nc_u64 s[18:19], s[2:3], s[18:19]
	s_add_co_u32 s14, s14, s18
	s_cselect_b32 s2, -1, 0
	s_delay_alu instid0(SALU_CYCLE_1) | instskip(SKIP_1) | instid1(SALU_CYCLE_1)
	s_cmp_lg_u32 s2, 0
	s_add_co_ci_u32 s15, s15, s19
	s_mul_u64 s[16:17], s[16:17], s[14:15]
	s_delay_alu instid0(SALU_CYCLE_1)
	s_mul_hi_u32 s19, s14, s17
	s_mul_i32 s18, s14, s17
	s_mul_hi_u32 s2, s14, s16
	s_mul_i32 s13, s15, s16
	s_add_nc_u64 s[18:19], s[2:3], s[18:19]
	s_mul_hi_u32 s9, s15, s16
	s_mul_hi_u32 s20, s15, s17
	s_add_co_u32 s2, s18, s13
	s_add_co_ci_u32 s2, s19, s9
	s_mul_i32 s16, s15, s17
	s_add_co_ci_u32 s17, s20, 0
	s_delay_alu instid0(SALU_CYCLE_1) | instskip(NEXT) | instid1(SALU_CYCLE_1)
	s_add_nc_u64 s[16:17], s[2:3], s[16:17]
	s_add_co_u32 s14, s14, s16
	s_cselect_b32 s2, -1, 0
	v_mul_hi_u32 v14, v0, s14
	s_cmp_lg_u32 s2, 0
	s_add_co_ci_u32 s2, s15, s17
	s_mov_b64 s[16:17], 0xffffffff
	v_mul_u64_e32 v[10:11], s[2:3], v[0:1]
	s_and_b64 s[16:17], s[14:15], s[16:17]
	v_mul_u64_e32 v[12:13], s[2:3], v[8:9]
	v_mul_u64_e32 v[6:7], s[16:17], v[8:9]
	s_delay_alu instid0(VALU_DEP_3) | instskip(NEXT) | instid1(VALU_DEP_1)
	v_add_nc_u64_e32 v[10:11], v[14:15], v[10:11]
	v_add_co_u32 v1, vcc_lo, v10, v6
	s_delay_alu instid0(VALU_DEP_2) | instskip(SKIP_1) | instid1(VALU_DEP_1)
	v_add_co_ci_u32_e32 v14, vcc_lo, v11, v7, vcc_lo
	v_add_co_ci_u32_e32 v13, vcc_lo, 0, v13, vcc_lo
	v_add_nc_u64_e32 v[6:7], v[14:15], v[12:13]
	s_delay_alu instid0(VALU_DEP_1) | instskip(NEXT) | instid1(VALU_DEP_1)
	v_mul_u64_e32 v[10:11], s[10:11], v[6:7]
	v_sub_nc_u32_e32 v1, v8, v11
	s_delay_alu instid0(VALU_DEP_2) | instskip(NEXT) | instid1(VALU_DEP_1)
	v_sub_co_u32 v0, vcc_lo, v0, v10
	v_sub_co_ci_u32_e64 v10, null, v8, v11, vcc_lo
	s_delay_alu instid0(VALU_DEP_3) | instskip(NEXT) | instid1(VALU_DEP_3)
	v_subrev_co_ci_u32_e64 v1, null, s11, v1, vcc_lo
	v_sub_co_u32 v5, s2, v0, s10
	s_delay_alu instid0(VALU_DEP_1) | instskip(NEXT) | instid1(VALU_DEP_2)
	v_subrev_co_ci_u32_e64 v1, null, 0, v1, s2
	v_cmp_le_u32_e32 vcc_lo, s10, v5
	v_cndmask_b32_e64 v5, 0, -1, vcc_lo
	s_delay_alu instid0(VALU_DEP_3)
	v_cmp_le_u32_e32 vcc_lo, s11, v1
	v_cndmask_b32_e64 v8, 0, -1, vcc_lo
	v_cmp_le_u32_e32 vcc_lo, s10, v0
	v_cndmask_b32_e64 v11, 0, -1, vcc_lo
	;; [unrolled: 2-line block ×3, first 2 shown]
	v_cmp_eq_u32_e32 vcc_lo, s11, v1
	v_add_nc_u64_e32 v[0:1], 2, v[6:7]
	v_cndmask_b32_e32 v5, v8, v5, vcc_lo
	v_cmp_eq_u32_e32 vcc_lo, s11, v10
	v_add_nc_u64_e32 v[8:9], 1, v[6:7]
	v_cndmask_b32_e32 v10, v12, v11, vcc_lo
	s_delay_alu instid0(VALU_DEP_4) | instskip(NEXT) | instid1(VALU_DEP_3)
	v_cmp_ne_u32_e32 vcc_lo, 0, v5
	v_cndmask_b32_e32 v1, v9, v1, vcc_lo
	s_delay_alu instid0(VALU_DEP_3) | instskip(SKIP_1) | instid1(VALU_DEP_2)
	v_cmp_ne_u32_e64 s2, 0, v10
	v_cndmask_b32_e32 v5, v8, v0, vcc_lo
	v_dual_cndmask_b32 v4, v7, v1, s2 :: v_dual_bitop2_b32 v0, s8, v4 bitop3:0x14
	s_delay_alu instid0(VALU_DEP_1) | instskip(NEXT) | instid1(VALU_DEP_2)
	v_dual_cndmask_b32 v6, v6, v5, s2 :: v_dual_mov_b32 v1, v0
	v_xor_b32_e32 v5, v4, v0
	s_delay_alu instid0(VALU_DEP_2) | instskip(NEXT) | instid1(VALU_DEP_1)
	v_xor_b32_e32 v4, v6, v0
	v_sub_nc_u64_e32 v[4:5], v[4:5], v[0:1]
.LBB2_2:
	s_and_not1_saveexec_b32 s2, s12
	s_cbranch_execz .LBB2_4
; %bb.3:
	v_cvt_f32_u32_e32 v0, s6
	s_sub_co_i32 s3, 0, s6
	s_delay_alu instid0(VALU_DEP_1) | instskip(SKIP_1) | instid1(TRANS32_DEP_1)
	v_rcp_iflag_f32_e32 v0, v0
	v_nop
	v_mul_f32_e32 v0, 0x4f7ffffe, v0
	s_delay_alu instid0(VALU_DEP_1) | instskip(NEXT) | instid1(VALU_DEP_1)
	v_cvt_u32_f32_e32 v0, v0
	v_mul_lo_u32 v1, s3, v0
	s_delay_alu instid0(VALU_DEP_1) | instskip(NEXT) | instid1(VALU_DEP_1)
	v_mul_hi_u32 v1, v0, v1
	v_add_nc_u32_e32 v0, v0, v1
	s_delay_alu instid0(VALU_DEP_1) | instskip(NEXT) | instid1(VALU_DEP_1)
	v_mul_hi_u32 v0, v2, v0
	v_mul_lo_u32 v1, v0, s6
	s_delay_alu instid0(VALU_DEP_1) | instskip(NEXT) | instid1(VALU_DEP_1)
	v_sub_nc_u32_e32 v1, v2, v1
	v_subrev_nc_u32_e32 v5, s6, v1
	v_cmp_le_u32_e32 vcc_lo, s6, v1
	s_delay_alu instid0(VALU_DEP_2) | instskip(NEXT) | instid1(VALU_DEP_1)
	v_dual_cndmask_b32 v1, v1, v5 :: v_dual_add_nc_u32 v4, 1, v0
	v_dual_cndmask_b32 v0, v0, v4 :: v_dual_mov_b32 v5, 0
	s_delay_alu instid0(VALU_DEP_2) | instskip(NEXT) | instid1(VALU_DEP_2)
	v_cmp_le_u32_e32 vcc_lo, s6, v1
	v_add_nc_u32_e32 v4, 1, v0
	s_delay_alu instid0(VALU_DEP_1)
	v_cndmask_b32_e32 v4, v0, v4, vcc_lo
.LBB2_4:
	s_or_b32 exec_lo, exec_lo, s2
	s_delay_alu instid0(VALU_DEP_1) | instskip(SKIP_1) | instid1(VALU_DEP_1)
	v_dual_mov_b32 v0, v4 :: v_dual_ashrrev_i32 v1, 31, v4
	s_mov_b32 s2, exec_lo
	v_cmpx_gt_i64_e64 s[4:5], v[0:1]
	s_cbranch_execz .LBB2_8
; %bb.5:
	v_mul_u64_e32 v[6:7], s[6:7], v[4:5]
	s_delay_alu instid0(VALU_DEP_1) | instskip(NEXT) | instid1(VALU_DEP_1)
	v_sub_nc_u64_e32 v[2:3], v[2:3], v[6:7]
	v_ashrrev_i32_e32 v3, 31, v2
	s_delay_alu instid0(VALU_DEP_1)
	v_cmp_gt_i64_e32 vcc_lo, s[6:7], v[2:3]
	s_and_b32 exec_lo, exec_lo, vcc_lo
	s_cbranch_execz .LBB2_8
; %bb.6:
	s_load_b128 s[8:11], s[0:1], 0x0
	v_cmp_lt_i32_e32 vcc_lo, 0, v4
	v_add_nc_u32_e32 v6, 1, v4
	v_mul_lo_u32 v16, v1, s6
	v_mad_nc_u64_u32 v[12:13], v0, s6, v[2:3]
	v_mul_lo_u32 v15, v0, s7
	s_delay_alu instid0(VALU_DEP_4) | instskip(SKIP_2) | instid1(VALU_DEP_1)
	v_dual_cndmask_b32 v5, s4, v4, vcc_lo :: v_dual_ashrrev_i32 v7, 31, v6
	s_wait_xcnt 0x0
	s_load_b96 s[0:2], s[0:1], 0x10
	v_dual_add_nc_u32 v5, -1, v5 :: v_dual_bitop2_b32 v4, 1, v4 bitop3:0x40
	s_delay_alu instid0(VALU_DEP_2) | instskip(NEXT) | instid1(VALU_DEP_4)
	v_cmp_gt_i64_e32 vcc_lo, s[4:5], v[6:7]
	v_add3_u32 v13, v16, v13, v15
	v_dual_cndmask_b32 v11, 0, v7 :: v_dual_cndmask_b32 v14, 0, v6
	s_wait_kmcnt 0x0
	v_mad_nc_u64_u32 v[8:9], v5, s6, s[10:11]
	v_cmp_lt_i32_e32 vcc_lo, 0, v2
	v_ashrrev_i32_e32 v10, 31, v5
	v_mad_nc_u64_u32 v[6:7], v14, s6, s[10:11]
	v_cndmask_b32_e32 v1, s6, v2, vcc_lo
	s_delay_alu instid0(VALU_DEP_3) | instskip(SKIP_1) | instid1(VALU_DEP_4)
	v_mad_u32 v9, v10, s6, v9
	v_add_nc_u32_e32 v10, 1, v2
	v_mad_u32 v7, v11, s6, v7
	s_delay_alu instid0(VALU_DEP_2) | instskip(NEXT) | instid1(VALU_DEP_4)
	v_ashrrev_i32_e32 v11, 31, v10
	v_mad_u32 v9, v5, s7, v9
	v_add_nc_u32_e32 v5, -1, v1
	s_delay_alu instid0(VALU_DEP_3)
	v_cmp_gt_i64_e32 vcc_lo, s[6:7], v[10:11]
	v_mad_nc_u64_u32 v[0:1], v0, s6, s[10:11]
	v_mad_u32 v7, v14, s7, v7
	v_cndmask_b32_e32 v10, 0, v10, vcc_lo
	v_cmp_eq_u32_e32 vcc_lo, 0, v4
	v_add_nc_u64_e32 v[8:9], v[8:9], v[2:3]
	v_add3_u32 v1, v16, v1, v15
	s_delay_alu instid0(VALU_DEP_4)
	v_cndmask_b32_e32 v4, v5, v10, vcc_lo
	v_add_nc_u64_e32 v[10:11], s[10:11], v[12:13]
	v_add_nc_u64_e32 v[2:3], v[6:7], v[2:3]
	s_clause 0x1
	global_load_u8 v6, v[8:9], off
	global_load_u8 v7, v[10:11], off
	v_ashrrev_i32_e32 v5, 31, v4
	s_delay_alu instid0(VALU_DEP_1)
	v_add_nc_u64_e32 v[0:1], v[0:1], v[4:5]
	s_clause 0x1
	global_load_u8 v8, v[2:3], off
	global_load_u8 v9, v[0:1], off
	s_wait_xcnt 0x0
	v_add_nc_u64_e32 v[0:1], s[8:9], v[12:13]
	v_lshl_add_u64 v[4:5], v[12:13], 2, s[0:1]
	s_mul_f32 s0, s2, -2.0
	global_load_b32 v3, v[4:5], off
	global_load_i8 v2, v[0:1], off
	s_wait_loadcnt 0x4
	s_wait_xcnt 0x1
	v_add_nc_u16 v4, v7, v6
	s_wait_loadcnt 0x3
	s_delay_alu instid0(VALU_DEP_1) | instskip(SKIP_1) | instid1(VALU_DEP_1)
	v_add_nc_u16 v4, v4, v8
	s_wait_loadcnt 0x2
	v_add_nc_u16 v4, v4, v9
	s_wait_loadcnt 0x0
	v_bfe_i32 v5, v2, 0, 16
	s_delay_alu instid0(VALU_DEP_2) | instskip(NEXT) | instid1(VALU_DEP_2)
	v_bfe_i32 v4, v4, 0, 8
	v_cvt_f32_i32_e32 v5, v5
	s_delay_alu instid0(VALU_DEP_2) | instskip(NEXT) | instid1(VALU_DEP_1)
	v_bfe_i32 v4, v4, 0, 16
	v_cvt_f32_i32_e32 v4, v4
	s_delay_alu instid0(VALU_DEP_1) | instskip(NEXT) | instid1(VALU_DEP_1)
	v_mul_f32_e32 v4, s0, v4
	v_mul_f32_e32 v4, v4, v5
	s_delay_alu instid0(VALU_DEP_1) | instskip(SKIP_1) | instid1(VALU_DEP_2)
	v_mul_f32_e32 v5, 0x3fb8aa3b, v4
	v_cmp_ngt_f32_e32 vcc_lo, 0xc2ce8ed0, v4
	v_fma_f32 v6, 0x3fb8aa3b, v4, -v5
	v_rndne_f32_e32 v7, v5
	s_delay_alu instid0(VALU_DEP_1) | instskip(NEXT) | instid1(VALU_DEP_1)
	v_dual_fmamk_f32 v6, v4, 0x32a5705f, v6 :: v_dual_sub_f32 v5, v5, v7
	v_add_f32_e32 v5, v5, v6
	v_cvt_i32_f32_e32 v6, v7
	s_delay_alu instid0(VALU_DEP_2) | instskip(SKIP_1) | instid1(TRANS32_DEP_1)
	v_exp_f32_e32 v5, v5
	v_nop
	v_ldexp_f32 v5, v5, v6
	s_delay_alu instid0(VALU_DEP_1) | instskip(SKIP_1) | instid1(VALU_DEP_2)
	v_cndmask_b32_e32 v5, 0, v5, vcc_lo
	v_cmp_nlt_f32_e32 vcc_lo, 0x42b17218, v4
	v_cndmask_b32_e32 v4, 0x7f800000, v5, vcc_lo
	s_delay_alu instid0(VALU_DEP_1)
	v_cmp_lt_f32_e32 vcc_lo, v3, v4
	s_and_b32 exec_lo, exec_lo, vcc_lo
	s_cbranch_execz .LBB2_8
; %bb.7:
	v_sub_nc_u16 v2, 0, v2
	global_store_b8 v[0:1], v2, off
.LBB2_8:
	s_endpgm
	.section	.rodata,"a",@progbits
	.p2align	6, 0x0
	.amdhsa_kernel _Z14update_latticeILb0EEvPaPKaPKffxx
		.amdhsa_group_segment_fixed_size 0
		.amdhsa_private_segment_fixed_size 0
		.amdhsa_kernarg_size 304
		.amdhsa_user_sgpr_count 2
		.amdhsa_user_sgpr_dispatch_ptr 0
		.amdhsa_user_sgpr_queue_ptr 0
		.amdhsa_user_sgpr_kernarg_segment_ptr 1
		.amdhsa_user_sgpr_dispatch_id 0
		.amdhsa_user_sgpr_kernarg_preload_length 0
		.amdhsa_user_sgpr_kernarg_preload_offset 0
		.amdhsa_user_sgpr_private_segment_size 0
		.amdhsa_wavefront_size32 1
		.amdhsa_uses_dynamic_stack 0
		.amdhsa_enable_private_segment 0
		.amdhsa_system_sgpr_workgroup_id_x 1
		.amdhsa_system_sgpr_workgroup_id_y 0
		.amdhsa_system_sgpr_workgroup_id_z 0
		.amdhsa_system_sgpr_workgroup_info 0
		.amdhsa_system_vgpr_workitem_id 0
		.amdhsa_next_free_vgpr 17
		.amdhsa_next_free_sgpr 23
		.amdhsa_named_barrier_count 0
		.amdhsa_reserve_vcc 1
		.amdhsa_float_round_mode_32 0
		.amdhsa_float_round_mode_16_64 0
		.amdhsa_float_denorm_mode_32 3
		.amdhsa_float_denorm_mode_16_64 3
		.amdhsa_fp16_overflow 0
		.amdhsa_memory_ordered 1
		.amdhsa_forward_progress 1
		.amdhsa_inst_pref_size 12
		.amdhsa_round_robin_scheduling 0
		.amdhsa_exception_fp_ieee_invalid_op 0
		.amdhsa_exception_fp_denorm_src 0
		.amdhsa_exception_fp_ieee_div_zero 0
		.amdhsa_exception_fp_ieee_overflow 0
		.amdhsa_exception_fp_ieee_underflow 0
		.amdhsa_exception_fp_ieee_inexact 0
		.amdhsa_exception_int_div_zero 0
	.end_amdhsa_kernel
	.section	.text._Z14update_latticeILb0EEvPaPKaPKffxx,"axG",@progbits,_Z14update_latticeILb0EEvPaPKaPKffxx,comdat
.Lfunc_end2:
	.size	_Z14update_latticeILb0EEvPaPKaPKffxx, .Lfunc_end2-_Z14update_latticeILb0EEvPaPKaPKffxx
                                        ; -- End function
	.set _Z14update_latticeILb0EEvPaPKaPKffxx.num_vgpr, 17
	.set _Z14update_latticeILb0EEvPaPKaPKffxx.num_agpr, 0
	.set _Z14update_latticeILb0EEvPaPKaPKffxx.numbered_sgpr, 23
	.set _Z14update_latticeILb0EEvPaPKaPKffxx.num_named_barrier, 0
	.set _Z14update_latticeILb0EEvPaPKaPKffxx.private_seg_size, 0
	.set _Z14update_latticeILb0EEvPaPKaPKffxx.uses_vcc, 1
	.set _Z14update_latticeILb0EEvPaPKaPKffxx.uses_flat_scratch, 0
	.set _Z14update_latticeILb0EEvPaPKaPKffxx.has_dyn_sized_stack, 0
	.set _Z14update_latticeILb0EEvPaPKaPKffxx.has_recursion, 0
	.set _Z14update_latticeILb0EEvPaPKaPKffxx.has_indirect_call, 0
	.section	.AMDGPU.csdata,"",@progbits
; Kernel info:
; codeLenInByte = 1488
; TotalNumSgprs: 25
; NumVgprs: 17
; ScratchSize: 0
; MemoryBound: 0
; FloatMode: 240
; IeeeMode: 1
; LDSByteSize: 0 bytes/workgroup (compile time only)
; SGPRBlocks: 0
; VGPRBlocks: 1
; NumSGPRsForWavesPerEU: 25
; NumVGPRsForWavesPerEU: 17
; NamedBarCnt: 0
; Occupancy: 16
; WaveLimiterHint : 0
; COMPUTE_PGM_RSRC2:SCRATCH_EN: 0
; COMPUTE_PGM_RSRC2:USER_SGPR: 2
; COMPUTE_PGM_RSRC2:TRAP_HANDLER: 0
; COMPUTE_PGM_RSRC2:TGID_X_EN: 1
; COMPUTE_PGM_RSRC2:TGID_Y_EN: 0
; COMPUTE_PGM_RSRC2:TGID_Z_EN: 0
; COMPUTE_PGM_RSRC2:TIDIG_COMP_CNT: 0
	.text
	.p2alignl 7, 3214868480
	.fill 96, 4, 3214868480
	.section	.AMDGPU.gpr_maximums,"",@progbits
	.set amdgpu.max_num_vgpr, 0
	.set amdgpu.max_num_agpr, 0
	.set amdgpu.max_num_sgpr, 0
	.text
	.type	__hip_cuid_727d341b1ee93199,@object ; @__hip_cuid_727d341b1ee93199
	.section	.bss,"aw",@nobits
	.globl	__hip_cuid_727d341b1ee93199
__hip_cuid_727d341b1ee93199:
	.byte	0                               ; 0x0
	.size	__hip_cuid_727d341b1ee93199, 1

	.ident	"AMD clang version 22.0.0git (https://github.com/RadeonOpenCompute/llvm-project roc-7.2.4 26084 f58b06dce1f9c15707c5f808fd002e18c2accf7e)"
	.section	".note.GNU-stack","",@progbits
	.addrsig
	.addrsig_sym __hip_cuid_727d341b1ee93199
	.amdgpu_metadata
---
amdhsa.kernels:
  - .args:
      - .address_space:  global
        .offset:         0
        .size:           8
        .value_kind:     global_buffer
      - .actual_access:  read_only
        .address_space:  global
        .offset:         8
        .size:           8
        .value_kind:     global_buffer
      - .offset:         16
        .size:           8
        .value_kind:     by_value
      - .offset:         24
        .size:           8
        .value_kind:     by_value
      - .offset:         32
        .size:           4
        .value_kind:     hidden_block_count_x
      - .offset:         36
        .size:           4
        .value_kind:     hidden_block_count_y
      - .offset:         40
        .size:           4
        .value_kind:     hidden_block_count_z
      - .offset:         44
        .size:           2
        .value_kind:     hidden_group_size_x
      - .offset:         46
        .size:           2
        .value_kind:     hidden_group_size_y
      - .offset:         48
        .size:           2
        .value_kind:     hidden_group_size_z
      - .offset:         50
        .size:           2
        .value_kind:     hidden_remainder_x
      - .offset:         52
        .size:           2
        .value_kind:     hidden_remainder_y
      - .offset:         54
        .size:           2
        .value_kind:     hidden_remainder_z
      - .offset:         72
        .size:           8
        .value_kind:     hidden_global_offset_x
      - .offset:         80
        .size:           8
        .value_kind:     hidden_global_offset_y
      - .offset:         88
        .size:           8
        .value_kind:     hidden_global_offset_z
      - .offset:         96
        .size:           2
        .value_kind:     hidden_grid_dims
    .group_segment_fixed_size: 0
    .kernarg_segment_align: 8
    .kernarg_segment_size: 288
    .language:       OpenCL C
    .language_version:
      - 2
      - 0
    .max_flat_workgroup_size: 1024
    .name:           _Z10init_spinsPaPKfxx
    .private_segment_fixed_size: 0
    .sgpr_count:     12
    .sgpr_spill_count: 0
    .symbol:         _Z10init_spinsPaPKfxx.kd
    .uniform_work_group_size: 1
    .uses_dynamic_stack: false
    .vgpr_count:     4
    .vgpr_spill_count: 0
    .wavefront_size: 32
  - .args:
      - .address_space:  global
        .offset:         0
        .size:           8
        .value_kind:     global_buffer
      - .actual_access:  read_only
        .address_space:  global
        .offset:         8
        .size:           8
        .value_kind:     global_buffer
      - .actual_access:  read_only
        .address_space:  global
        .offset:         16
        .size:           8
        .value_kind:     global_buffer
      - .offset:         24
        .size:           4
        .value_kind:     by_value
      - .offset:         32
        .size:           8
        .value_kind:     by_value
      - .offset:         40
        .size:           8
        .value_kind:     by_value
      - .offset:         48
        .size:           4
        .value_kind:     hidden_block_count_x
      - .offset:         52
        .size:           4
        .value_kind:     hidden_block_count_y
      - .offset:         56
        .size:           4
        .value_kind:     hidden_block_count_z
      - .offset:         60
        .size:           2
        .value_kind:     hidden_group_size_x
      - .offset:         62
        .size:           2
        .value_kind:     hidden_group_size_y
      - .offset:         64
        .size:           2
        .value_kind:     hidden_group_size_z
      - .offset:         66
        .size:           2
        .value_kind:     hidden_remainder_x
      - .offset:         68
        .size:           2
        .value_kind:     hidden_remainder_y
      - .offset:         70
        .size:           2
        .value_kind:     hidden_remainder_z
      - .offset:         88
        .size:           8
        .value_kind:     hidden_global_offset_x
      - .offset:         96
        .size:           8
        .value_kind:     hidden_global_offset_y
      - .offset:         104
        .size:           8
        .value_kind:     hidden_global_offset_z
      - .offset:         112
        .size:           2
        .value_kind:     hidden_grid_dims
    .group_segment_fixed_size: 0
    .kernarg_segment_align: 8
    .kernarg_segment_size: 304
    .language:       OpenCL C
    .language_version:
      - 2
      - 0
    .max_flat_workgroup_size: 1024
    .name:           _Z14update_latticeILb1EEvPaPKaPKffxx
    .private_segment_fixed_size: 0
    .sgpr_count:     25
    .sgpr_spill_count: 0
    .symbol:         _Z14update_latticeILb1EEvPaPKaPKffxx.kd
    .uniform_work_group_size: 1
    .uses_dynamic_stack: false
    .vgpr_count:     17
    .vgpr_spill_count: 0
    .wavefront_size: 32
  - .args:
      - .address_space:  global
        .offset:         0
        .size:           8
        .value_kind:     global_buffer
      - .actual_access:  read_only
        .address_space:  global
        .offset:         8
        .size:           8
        .value_kind:     global_buffer
      - .actual_access:  read_only
        .address_space:  global
        .offset:         16
        .size:           8
        .value_kind:     global_buffer
      - .offset:         24
        .size:           4
        .value_kind:     by_value
      - .offset:         32
        .size:           8
        .value_kind:     by_value
      - .offset:         40
        .size:           8
        .value_kind:     by_value
      - .offset:         48
        .size:           4
        .value_kind:     hidden_block_count_x
      - .offset:         52
        .size:           4
        .value_kind:     hidden_block_count_y
      - .offset:         56
        .size:           4
        .value_kind:     hidden_block_count_z
      - .offset:         60
        .size:           2
        .value_kind:     hidden_group_size_x
      - .offset:         62
        .size:           2
        .value_kind:     hidden_group_size_y
      - .offset:         64
        .size:           2
        .value_kind:     hidden_group_size_z
      - .offset:         66
        .size:           2
        .value_kind:     hidden_remainder_x
      - .offset:         68
        .size:           2
        .value_kind:     hidden_remainder_y
      - .offset:         70
        .size:           2
        .value_kind:     hidden_remainder_z
      - .offset:         88
        .size:           8
        .value_kind:     hidden_global_offset_x
      - .offset:         96
        .size:           8
        .value_kind:     hidden_global_offset_y
      - .offset:         104
        .size:           8
        .value_kind:     hidden_global_offset_z
      - .offset:         112
        .size:           2
        .value_kind:     hidden_grid_dims
    .group_segment_fixed_size: 0
    .kernarg_segment_align: 8
    .kernarg_segment_size: 304
    .language:       OpenCL C
    .language_version:
      - 2
      - 0
    .max_flat_workgroup_size: 1024
    .name:           _Z14update_latticeILb0EEvPaPKaPKffxx
    .private_segment_fixed_size: 0
    .sgpr_count:     25
    .sgpr_spill_count: 0
    .symbol:         _Z14update_latticeILb0EEvPaPKaPKffxx.kd
    .uniform_work_group_size: 1
    .uses_dynamic_stack: false
    .vgpr_count:     17
    .vgpr_spill_count: 0
    .wavefront_size: 32
amdhsa.target:   amdgcn-amd-amdhsa--gfx1250
amdhsa.version:
  - 1
  - 2
...

	.end_amdgpu_metadata
